;; amdgpu-corpus repo=ROCm/rocFFT kind=compiled arch=gfx950 opt=O3
	.text
	.amdgcn_target "amdgcn-amd-amdhsa--gfx950"
	.amdhsa_code_object_version 6
	.protected	fft_rtc_back_len1274_factors_2_13_7_7_wgs_182_tpt_182_halfLds_sp_ip_CI_unitstride_sbrr_R2C_dirReg ; -- Begin function fft_rtc_back_len1274_factors_2_13_7_7_wgs_182_tpt_182_halfLds_sp_ip_CI_unitstride_sbrr_R2C_dirReg
	.globl	fft_rtc_back_len1274_factors_2_13_7_7_wgs_182_tpt_182_halfLds_sp_ip_CI_unitstride_sbrr_R2C_dirReg
	.p2align	8
	.type	fft_rtc_back_len1274_factors_2_13_7_7_wgs_182_tpt_182_halfLds_sp_ip_CI_unitstride_sbrr_R2C_dirReg,@function
fft_rtc_back_len1274_factors_2_13_7_7_wgs_182_tpt_182_halfLds_sp_ip_CI_unitstride_sbrr_R2C_dirReg: ; @fft_rtc_back_len1274_factors_2_13_7_7_wgs_182_tpt_182_halfLds_sp_ip_CI_unitstride_sbrr_R2C_dirReg
; %bb.0:
	s_load_dwordx2 s[8:9], s[0:1], 0x50
	s_load_dwordx4 s[4:7], s[0:1], 0x0
	s_load_dwordx2 s[10:11], s[0:1], 0x18
	v_mul_u32_u24_e32 v1, 0x169, v0
	v_add_u32_sdwa v6, s2, v1 dst_sel:DWORD dst_unused:UNUSED_PAD src0_sel:DWORD src1_sel:WORD_1
	v_mov_b32_e32 v4, 0
	s_waitcnt lgkmcnt(0)
	v_cmp_lt_u64_e64 s[2:3], s[6:7], 2
	v_mov_b32_e32 v7, v4
	s_and_b64 vcc, exec, s[2:3]
	v_mov_b64_e32 v[2:3], 0
	s_cbranch_vccnz .LBB0_8
; %bb.1:
	s_load_dwordx2 s[2:3], s[0:1], 0x10
	s_add_u32 s12, s10, 8
	s_addc_u32 s13, s11, 0
	s_mov_b64 s[14:15], 1
	v_mov_b64_e32 v[2:3], 0
	s_waitcnt lgkmcnt(0)
	s_add_u32 s16, s2, 8
	s_addc_u32 s17, s3, 0
.LBB0_2:                                ; =>This Inner Loop Header: Depth=1
	s_load_dwordx2 s[18:19], s[16:17], 0x0
                                        ; implicit-def: $vgpr8_vgpr9
	s_waitcnt lgkmcnt(0)
	v_or_b32_e32 v5, s19, v7
	v_cmp_ne_u64_e32 vcc, 0, v[4:5]
	s_and_saveexec_b64 s[2:3], vcc
	s_xor_b64 s[20:21], exec, s[2:3]
	s_cbranch_execz .LBB0_4
; %bb.3:                                ;   in Loop: Header=BB0_2 Depth=1
	v_cvt_f32_u32_e32 v1, s18
	v_cvt_f32_u32_e32 v5, s19
	s_sub_u32 s2, 0, s18
	s_subb_u32 s3, 0, s19
	v_fmac_f32_e32 v1, 0x4f800000, v5
	v_rcp_f32_e32 v1, v1
	s_nop 0
	v_mul_f32_e32 v1, 0x5f7ffffc, v1
	v_mul_f32_e32 v5, 0x2f800000, v1
	v_trunc_f32_e32 v5, v5
	v_fmac_f32_e32 v1, 0xcf800000, v5
	v_cvt_u32_f32_e32 v5, v5
	v_cvt_u32_f32_e32 v1, v1
	v_mul_lo_u32 v8, s2, v5
	v_mul_hi_u32 v10, s2, v1
	v_mul_lo_u32 v9, s3, v1
	v_add_u32_e32 v10, v10, v8
	v_mul_lo_u32 v12, s2, v1
	v_add_u32_e32 v13, v10, v9
	v_mul_hi_u32 v8, v1, v12
	v_mul_hi_u32 v11, v1, v13
	v_mul_lo_u32 v10, v1, v13
	v_mov_b32_e32 v9, v4
	v_lshl_add_u64 v[8:9], v[8:9], 0, v[10:11]
	v_mul_hi_u32 v11, v5, v12
	v_mul_lo_u32 v12, v5, v12
	v_add_co_u32_e32 v8, vcc, v8, v12
	v_mul_hi_u32 v10, v5, v13
	s_nop 0
	v_addc_co_u32_e32 v8, vcc, v9, v11, vcc
	v_mov_b32_e32 v9, v4
	s_nop 0
	v_addc_co_u32_e32 v11, vcc, 0, v10, vcc
	v_mul_lo_u32 v10, v5, v13
	v_lshl_add_u64 v[8:9], v[8:9], 0, v[10:11]
	v_add_co_u32_e32 v1, vcc, v1, v8
	v_mul_lo_u32 v10, s2, v1
	s_nop 0
	v_addc_co_u32_e32 v5, vcc, v5, v9, vcc
	v_mul_lo_u32 v8, s2, v5
	v_mul_hi_u32 v9, s2, v1
	v_add_u32_e32 v8, v9, v8
	v_mul_lo_u32 v9, s3, v1
	v_add_u32_e32 v12, v8, v9
	v_mul_hi_u32 v14, v5, v10
	v_mul_lo_u32 v15, v5, v10
	v_mul_hi_u32 v9, v1, v12
	v_mul_lo_u32 v8, v1, v12
	v_mul_hi_u32 v10, v1, v10
	v_mov_b32_e32 v11, v4
	v_lshl_add_u64 v[8:9], v[10:11], 0, v[8:9]
	v_add_co_u32_e32 v8, vcc, v8, v15
	v_mul_hi_u32 v13, v5, v12
	s_nop 0
	v_addc_co_u32_e32 v8, vcc, v9, v14, vcc
	v_mul_lo_u32 v10, v5, v12
	s_nop 0
	v_addc_co_u32_e32 v11, vcc, 0, v13, vcc
	v_mov_b32_e32 v9, v4
	v_lshl_add_u64 v[8:9], v[8:9], 0, v[10:11]
	v_add_co_u32_e32 v1, vcc, v1, v8
	v_mul_hi_u32 v10, v6, v1
	s_nop 0
	v_addc_co_u32_e32 v5, vcc, v5, v9, vcc
	v_mad_u64_u32 v[8:9], s[2:3], v6, v5, 0
	v_mov_b32_e32 v11, v4
	v_lshl_add_u64 v[8:9], v[10:11], 0, v[8:9]
	v_mad_u64_u32 v[12:13], s[2:3], v7, v1, 0
	v_add_co_u32_e32 v1, vcc, v8, v12
	v_mad_u64_u32 v[10:11], s[2:3], v7, v5, 0
	s_nop 0
	v_addc_co_u32_e32 v8, vcc, v9, v13, vcc
	v_mov_b32_e32 v9, v4
	s_nop 0
	v_addc_co_u32_e32 v11, vcc, 0, v11, vcc
	v_lshl_add_u64 v[8:9], v[8:9], 0, v[10:11]
	v_mul_lo_u32 v1, s19, v8
	v_mul_lo_u32 v5, s18, v9
	v_mad_u64_u32 v[10:11], s[2:3], s18, v8, 0
	v_add3_u32 v1, v11, v5, v1
	v_sub_u32_e32 v5, v7, v1
	v_mov_b32_e32 v11, s19
	v_sub_co_u32_e32 v14, vcc, v6, v10
	v_lshl_add_u64 v[12:13], v[8:9], 0, 1
	s_nop 0
	v_subb_co_u32_e64 v5, s[2:3], v5, v11, vcc
	v_subrev_co_u32_e64 v10, s[2:3], s18, v14
	v_subb_co_u32_e32 v1, vcc, v7, v1, vcc
	s_nop 0
	v_subbrev_co_u32_e64 v5, s[2:3], 0, v5, s[2:3]
	v_cmp_le_u32_e64 s[2:3], s19, v5
	v_cmp_le_u32_e32 vcc, s19, v1
	s_nop 0
	v_cndmask_b32_e64 v11, 0, -1, s[2:3]
	v_cmp_le_u32_e64 s[2:3], s18, v10
	s_nop 1
	v_cndmask_b32_e64 v10, 0, -1, s[2:3]
	v_cmp_eq_u32_e64 s[2:3], s19, v5
	s_nop 1
	v_cndmask_b32_e64 v5, v11, v10, s[2:3]
	v_lshl_add_u64 v[10:11], v[8:9], 0, 2
	v_cmp_ne_u32_e64 s[2:3], 0, v5
	s_nop 1
	v_cndmask_b32_e64 v5, v13, v11, s[2:3]
	v_cndmask_b32_e64 v11, 0, -1, vcc
	v_cmp_le_u32_e32 vcc, s18, v14
	s_nop 1
	v_cndmask_b32_e64 v13, 0, -1, vcc
	v_cmp_eq_u32_e32 vcc, s19, v1
	s_nop 1
	v_cndmask_b32_e32 v1, v11, v13, vcc
	v_cmp_ne_u32_e32 vcc, 0, v1
	v_cndmask_b32_e64 v1, v12, v10, s[2:3]
	s_nop 0
	v_cndmask_b32_e32 v9, v9, v5, vcc
	v_cndmask_b32_e32 v8, v8, v1, vcc
.LBB0_4:                                ;   in Loop: Header=BB0_2 Depth=1
	s_andn2_saveexec_b64 s[2:3], s[20:21]
	s_cbranch_execz .LBB0_6
; %bb.5:                                ;   in Loop: Header=BB0_2 Depth=1
	v_cvt_f32_u32_e32 v1, s18
	s_sub_i32 s20, 0, s18
	v_rcp_iflag_f32_e32 v1, v1
	s_nop 0
	v_mul_f32_e32 v1, 0x4f7ffffe, v1
	v_cvt_u32_f32_e32 v1, v1
	v_mul_lo_u32 v5, s20, v1
	v_mul_hi_u32 v5, v1, v5
	v_add_u32_e32 v1, v1, v5
	v_mul_hi_u32 v1, v6, v1
	v_mul_lo_u32 v5, v1, s18
	v_sub_u32_e32 v5, v6, v5
	v_add_u32_e32 v8, 1, v1
	v_subrev_u32_e32 v9, s18, v5
	v_cmp_le_u32_e32 vcc, s18, v5
	s_nop 1
	v_cndmask_b32_e32 v5, v5, v9, vcc
	v_cndmask_b32_e32 v1, v1, v8, vcc
	v_add_u32_e32 v8, 1, v1
	v_cmp_le_u32_e32 vcc, s18, v5
	v_mov_b32_e32 v9, v4
	s_nop 0
	v_cndmask_b32_e32 v8, v1, v8, vcc
.LBB0_6:                                ;   in Loop: Header=BB0_2 Depth=1
	s_or_b64 exec, exec, s[2:3]
	v_mad_u64_u32 v[10:11], s[2:3], v8, s18, 0
	s_load_dwordx2 s[2:3], s[12:13], 0x0
	v_mul_lo_u32 v1, v9, s18
	v_mul_lo_u32 v5, v8, s19
	v_add3_u32 v1, v11, v5, v1
	v_sub_co_u32_e32 v5, vcc, v6, v10
	s_add_u32 s14, s14, 1
	s_nop 0
	v_subb_co_u32_e32 v1, vcc, v7, v1, vcc
	s_addc_u32 s15, s15, 0
	s_waitcnt lgkmcnt(0)
	v_mul_lo_u32 v1, s2, v1
	v_mul_lo_u32 v6, s3, v5
	v_mad_u64_u32 v[2:3], s[2:3], s2, v5, v[2:3]
	s_add_u32 s12, s12, 8
	v_add3_u32 v3, v6, v3, v1
	s_addc_u32 s13, s13, 0
	v_mov_b64_e32 v[6:7], s[6:7]
	s_add_u32 s16, s16, 8
	v_cmp_ge_u64_e32 vcc, s[14:15], v[6:7]
	s_addc_u32 s17, s17, 0
	s_cbranch_vccnz .LBB0_9
; %bb.7:                                ;   in Loop: Header=BB0_2 Depth=1
	v_mov_b64_e32 v[6:7], v[8:9]
	s_branch .LBB0_2
.LBB0_8:
	v_mov_b64_e32 v[8:9], v[6:7]
.LBB0_9:
	s_lshl_b64 s[2:3], s[6:7], 3
	s_add_u32 s2, s10, s2
	s_addc_u32 s3, s11, s3
	s_load_dwordx2 s[6:7], s[2:3], 0x0
	s_load_dwordx2 s[10:11], s[0:1], 0x20
	s_mov_b32 s2, 0x1681682
                                        ; implicit-def: $vgpr28
                                        ; implicit-def: $vgpr32
                                        ; implicit-def: $vgpr30
	s_waitcnt lgkmcnt(0)
	v_mul_lo_u32 v1, s6, v9
	v_mul_lo_u32 v4, s7, v8
	v_mad_u64_u32 v[2:3], s[0:1], s6, v8, v[2:3]
	v_add3_u32 v3, v4, v3, v1
	v_mul_hi_u32 v1, v0, s2
	v_mul_u32_u24_e32 v1, 0xb6, v1
	v_cmp_gt_u64_e64 s[0:1], s[10:11], v[8:9]
	v_cmp_le_u64_e32 vcc, s[10:11], v[8:9]
	v_sub_u32_e32 v24, v0, v1
	s_and_saveexec_b64 s[2:3], vcc
	s_xor_b64 s[2:3], exec, s[2:3]
; %bb.10:
	v_add_u32_e32 v28, 0xb6, v24
	v_add_u32_e32 v32, 0x16c, v24
	;; [unrolled: 1-line block ×3, first 2 shown]
; %bb.11:
	s_or_saveexec_b64 s[2:3], s[2:3]
	v_lshl_add_u64 v[26:27], v[2:3], 3, s[8:9]
	s_xor_b64 exec, exec, s[2:3]
	s_cbranch_execz .LBB0_13
; %bb.12:
	v_mov_b32_e32 v25, 0
	v_lshl_add_u64 v[0:1], v[24:25], 3, v[26:27]
	s_movk_i32 s6, 0x1000
	v_add_co_u32_e32 v2, vcc, s6, v0
	v_add_u32_e32 v28, 0xb6, v24
	s_nop 0
	v_addc_co_u32_e32 v3, vcc, 0, v1, vcc
	global_load_dwordx2 v[4:5], v[0:1], off
	global_load_dwordx2 v[6:7], v[0:1], off offset:1456
	global_load_dwordx2 v[8:9], v[0:1], off offset:2912
	;; [unrolled: 1-line block ×3, first 2 shown]
	v_add_co_u32_e32 v0, vcc, 0x2000, v0
	v_add_u32_e32 v32, 0x16c, v24
	s_nop 0
	v_addc_co_u32_e32 v1, vcc, 0, v1, vcc
	global_load_dwordx2 v[12:13], v[2:3], off offset:1728
	global_load_dwordx2 v[14:15], v[2:3], off offset:3184
	;; [unrolled: 1-line block ×3, first 2 shown]
	v_lshl_add_u32 v0, v24, 3, 0
	v_add_u32_e32 v30, 0x222, v24
	v_add_u32_e32 v1, 0xa00, v0
	;; [unrolled: 1-line block ×3, first 2 shown]
	s_waitcnt vmcnt(5)
	ds_write2_b64 v0, v[4:5], v[6:7] offset1:182
	s_waitcnt vmcnt(3)
	ds_write2_b64 v1, v[8:9], v[10:11] offset0:44 offset1:226
	s_waitcnt vmcnt(1)
	ds_write2_b64 v2, v[12:13], v[14:15] offset0:24 offset1:206
	s_waitcnt vmcnt(0)
	ds_write_b64 v0, v[16:17] offset:8736
.LBB0_13:
	s_or_b64 exec, exec, s[2:3]
	v_lshlrev_b32_e32 v25, 3, v24
	v_add_u32_e32 v56, 0, v25
	v_add_u32_e32 v0, 0x1200, v56
	s_waitcnt lgkmcnt(0)
	s_barrier
	ds_read2_b64 v[2:5], v0 offset0:61 offset1:243
	v_add_u32_e32 v0, 0xa00, v56
	ds_read2_b64 v[14:17], v56 offset1:182
	ds_read2_b64 v[6:9], v0 offset0:44 offset1:226
	v_add_u32_e32 v0, 0x1e00, v56
	ds_read2_b64 v[10:13], v0 offset0:41 offset1:223
	s_movk_i32 s2, 0x5b
	s_waitcnt lgkmcnt(2)
	v_pk_add_f32 v[2:3], v[14:15], v[2:3] neg_lo:[0,1] neg_hi:[0,1]
	v_add_u32_e32 v18, v56, v25
	v_pk_fma_f32 v[0:1], v[14:15], 2.0, v[2:3] op_sel_hi:[1,0,1] neg_lo:[0,0,1] neg_hi:[0,0,1]
	s_waitcnt lgkmcnt(0)
	v_pk_add_f32 v[14:15], v[8:9], v[12:13] neg_lo:[0,1] neg_hi:[0,1]
	v_pk_add_f32 v[10:11], v[6:7], v[10:11] neg_lo:[0,1] neg_hi:[0,1]
	v_pk_fma_f32 v[12:13], v[8:9], 2.0, v[14:15] op_sel_hi:[1,0,1] neg_lo:[0,0,1] neg_hi:[0,0,1]
	v_pk_fma_f32 v[8:9], v[6:7], 2.0, v[10:11] op_sel_hi:[1,0,1] neg_lo:[0,0,1] neg_hi:[0,0,1]
	v_pk_add_f32 v[6:7], v[16:17], v[4:5] neg_lo:[0,1] neg_hi:[0,1]
	v_cmp_gt_u32_e32 vcc, s2, v24
	v_pk_fma_f32 v[4:5], v[16:17], 2.0, v[6:7] op_sel_hi:[1,0,1] neg_lo:[0,0,1] neg_hi:[0,0,1]
	v_lshl_add_u32 v19, v28, 4, 0
	v_lshl_add_u32 v20, v32, 4, 0
	s_barrier
	ds_write2_b64 v18, v[0:1], v[2:3] offset1:1
	ds_write2_b64 v19, v[4:5], v[6:7] offset1:1
	;; [unrolled: 1-line block ×3, first 2 shown]
	s_and_saveexec_b64 s[2:3], vcc
	s_cbranch_execz .LBB0_15
; %bb.14:
	v_lshl_add_u32 v16, v30, 4, 0
	ds_write2_b64 v16, v[12:13], v[14:15] offset1:1
.LBB0_15:
	s_or_b64 exec, exec, s[2:3]
	s_movk_i32 s2, 0x62
	v_cmp_gt_u32_e64 s[2:3], s2, v24
	s_waitcnt lgkmcnt(0)
	s_barrier
	s_waitcnt lgkmcnt(0)
                                        ; implicit-def: $vgpr34
                                        ; implicit-def: $vgpr22
                                        ; implicit-def: $vgpr18
	s_and_saveexec_b64 s[6:7], s[2:3]
	s_cbranch_execz .LBB0_17
; %bb.16:
	v_add_u32_e32 v4, 0x400, v56
	v_add_u32_e32 v8, 0x800, v56
	;; [unrolled: 1-line block ×5, first 2 shown]
	ds_read2_b64 v[0:3], v56 offset1:98
	ds_read2_b64 v[4:7], v4 offset0:68 offset1:166
	ds_read2_b64 v[8:11], v8 offset0:136 offset1:234
	;; [unrolled: 1-line block ×5, first 2 shown]
	ds_read_b64 v[34:35], v56 offset:9408
.LBB0_17:
	s_or_b64 exec, exec, s[6:7]
	s_waitcnt lgkmcnt(0)
	s_barrier
	s_and_saveexec_b64 s[6:7], s[2:3]
	s_cbranch_execz .LBB0_19
; %bb.18:
	v_and_b32_e32 v29, 1, v24
	v_mul_u32_u24_e32 v31, 12, v29
	v_lshlrev_b32_e32 v31, 3, v31
	global_load_dwordx4 v[36:39], v31, s[4:5] offset:80
	global_load_dwordx4 v[40:43], v31, s[4:5] offset:64
	;; [unrolled: 1-line block ×4, first 2 shown]
	global_load_dwordx4 v[52:55], v31, s[4:5]
	global_load_dwordx4 v[58:61], v31, s[4:5] offset:16
	v_mov_b32_e32 v62, v35
	v_mov_b32_e32 v68, v23
	;; [unrolled: 1-line block ×14, first 2 shown]
	s_mov_b32 s12, 0xbeedf032
	s_mov_b32 s8, 0x3f62ad3f
	;; [unrolled: 1-line block ×15, first 2 shown]
	s_waitcnt vmcnt(5)
	v_pk_mul_f32 v[62:63], v[62:63], v[38:39] op_sel_hi:[0,1]
	v_pk_mul_f32 v[68:69], v[68:69], v[36:37] op_sel_hi:[0,1]
	s_waitcnt vmcnt(4)
	v_pk_mul_f32 v[70:71], v[70:71], v[42:43] op_sel_hi:[0,1]
	v_pk_mul_f32 v[72:73], v[72:73], v[40:41] op_sel_hi:[0,1]
	;; [unrolled: 3-line block ×5, first 2 shown]
	s_waitcnt vmcnt(0)
	v_mov_b32_e32 v90, v61
	v_mov_b32_e32 v91, v60
	v_pk_mul_f32 v[8:9], v[8:9], v[60:61] op_sel_hi:[0,1]
	v_pk_fma_f32 v[60:61], v[34:35], v[38:39], v[62:63] op_sel:[0,0,1] op_sel_hi:[1,1,0]
	v_pk_fma_f32 v[34:35], v[34:35], v[38:39], v[62:63] op_sel:[0,0,1] op_sel_hi:[0,1,0] neg_lo:[1,0,0] neg_hi:[1,0,0]
	v_pk_fma_f32 v[38:39], v[22:23], v[36:37], v[68:69] op_sel:[0,0,1] op_sel_hi:[1,1,0]
	v_pk_fma_f32 v[22:23], v[22:23], v[36:37], v[68:69] op_sel:[0,0,1] op_sel_hi:[0,1,0] neg_lo:[1,0,0] neg_hi:[1,0,0]
	;; [unrolled: 2-line block ×10, first 2 shown]
	v_mov_b32_e32 v61, v35
	v_mov_b32_e32 v49, v3
	v_pk_mul_f32 v[84:85], v[84:85], v[58:59] op_sel_hi:[0,1]
	v_mov_b32_e32 v39, v23
	v_mov_b32_e32 v53, v5
	v_pk_add_f32 v[64:65], v[48:49], v[60:61] neg_lo:[0,1] neg_hi:[0,1]
	v_pk_fma_f32 v[54:55], v[6:7], v[58:59], v[84:85] op_sel:[0,0,1] op_sel_hi:[1,1,0]
	v_pk_fma_f32 v[6:7], v[6:7], v[58:59], v[84:85] op_sel:[0,0,1] op_sel_hi:[0,1,0] neg_lo:[1,0,0] neg_hi:[1,0,0]
	v_pk_fma_f32 v[58:59], v[86:87], v[90:91], v[8:9]
	v_pk_fma_f32 v[8:9], v[88:89], v[90:91], v[8:9] op_sel_hi:[0,1,1] neg_lo:[0,0,1] neg_hi:[0,0,1]
	v_pk_add_f32 v[62:63], v[48:49], v[60:61]
	v_pk_add_f32 v[68:69], v[52:53], v[38:39] neg_lo:[0,1] neg_hi:[0,1]
	v_pk_mul_f32 v[2:3], v[64:65], s[12:13] op_sel_hi:[1,0]
	v_mov_b32_e32 v59, v9
	v_mov_b32_e32 v55, v7
	v_pk_add_f32 v[66:67], v[52:53], v[38:39]
	v_pk_mul_f32 v[8:9], v[68:69], s[10:11] op_sel_hi:[1,0]
	v_pk_fma_f32 v[4:5], v[62:63], s[8:9], v[2:3] op_sel:[0,0,1] op_sel_hi:[1,0,0]
	v_pk_fma_f32 v[6:7], v[62:63], s[8:9], v[2:3] op_sel:[0,0,1] op_sel_hi:[1,0,0] neg_lo:[0,0,1] neg_hi:[0,0,1]
	v_mov_b32_e32 v37, v21
	v_mov_b32_e32 v51, v11
	v_pk_fma_f32 v[2:3], v[66:67], s[2:3], v[8:9] op_sel:[0,0,1] op_sel_hi:[1,0,0]
	v_mov_b32_e32 v10, v4
	v_mov_b32_e32 v11, v7
	v_pk_fma_f32 v[8:9], v[66:67], s[2:3], v[8:9] op_sel:[0,0,1] op_sel_hi:[1,0,0] neg_lo:[0,0,1] neg_hi:[0,0,1]
	v_mov_b32_e32 v45, v13
	v_pk_add_f32 v[72:73], v[54:55], v[36:37] neg_lo:[0,1] neg_hi:[0,1]
	v_pk_add_f32 v[10:11], v[0:1], v[10:11]
	v_mov_b32_e32 v12, v2
	v_mov_b32_e32 v13, v9
	;; [unrolled: 1-line block ×3, first 2 shown]
	v_pk_add_f32 v[70:71], v[54:55], v[36:37]
	v_pk_add_f32 v[14:15], v[12:13], v[10:11]
	s_mov_b32 s12, 0x3df6dbef
	v_pk_mul_f32 v[12:13], v[72:73], s[28:29] op_sel_hi:[1,0]
	v_mov_b32_e32 v43, v19
	v_pk_fma_f32 v[10:11], v[70:71], s[12:13], v[12:13] op_sel:[0,0,1] op_sel_hi:[1,0,0]
	v_pk_fma_f32 v[12:13], v[70:71], s[12:13], v[12:13] op_sel:[0,0,1] op_sel_hi:[1,0,0] neg_lo:[0,0,1] neg_hi:[0,0,1]
	v_pk_add_f32 v[48:49], v[0:1], v[48:49]
	v_mov_b32_e32 v41, v17
	v_mov_b32_e32 v16, v10
	;; [unrolled: 1-line block ×3, first 2 shown]
	v_pk_add_f32 v[76:77], v[58:59], v[42:43] neg_lo:[0,1] neg_hi:[0,1]
	v_pk_add_f32 v[48:49], v[48:49], v[52:53]
	v_pk_add_f32 v[18:19], v[16:17], v[14:15]
	;; [unrolled: 1-line block ×3, first 2 shown]
	v_pk_mul_f32 v[16:17], v[76:77], s[16:17] op_sel_hi:[1,0]
	v_pk_add_f32 v[48:49], v[48:49], v[54:55]
	v_pk_fma_f32 v[14:15], v[74:75], s[14:15], v[16:17] op_sel:[0,0,1] op_sel_hi:[1,0,0]
	v_pk_fma_f32 v[16:17], v[74:75], s[14:15], v[16:17] op_sel:[0,0,1] op_sel_hi:[1,0,0] neg_lo:[0,0,1] neg_hi:[0,0,1]
	v_pk_add_f32 v[48:49], v[48:49], v[58:59]
	v_mov_b32_e32 v20, v14
	v_mov_b32_e32 v21, v17
	v_pk_add_f32 v[80:81], v[50:51], v[40:41] neg_lo:[0,1] neg_hi:[0,1]
	v_pk_add_f32 v[48:49], v[48:49], v[50:51]
	v_pk_add_f32 v[22:23], v[20:21], v[18:19]
	;; [unrolled: 1-line block ×3, first 2 shown]
	v_pk_mul_f32 v[20:21], v[80:81], s[20:21] op_sel_hi:[1,0]
	v_pk_add_f32 v[84:85], v[44:45], v[46:47]
	v_pk_add_f32 v[86:87], v[44:45], v[46:47] neg_lo:[0,1] neg_hi:[0,1]
	v_pk_add_f32 v[44:45], v[48:49], v[44:45]
	v_pk_fma_f32 v[18:19], v[78:79], s[18:19], v[20:21] op_sel:[0,0,1] op_sel_hi:[1,0,0]
	v_pk_fma_f32 v[20:21], v[78:79], s[18:19], v[20:21] op_sel:[0,0,1] op_sel_hi:[1,0,0] neg_lo:[0,0,1] neg_hi:[0,0,1]
	v_pk_add_f32 v[44:45], v[44:45], v[46:47]
	v_mov_b32_e32 v34, v18
	v_mov_b32_e32 v35, v21
	v_pk_add_f32 v[40:41], v[44:45], v[40:41]
	v_pk_add_f32 v[82:83], v[34:35], v[22:23]
	v_pk_mul_f32 v[34:35], v[86:87], s[24:25] op_sel_hi:[1,0]
	v_pk_add_f32 v[40:41], v[40:41], v[42:43]
	v_lshrrev_b32_e32 v2, 1, v24
	v_pk_fma_f32 v[22:23], v[84:85], s[22:23], v[34:35] op_sel:[0,0,1] op_sel_hi:[1,0,0]
	v_pk_fma_f32 v[34:35], v[84:85], s[22:23], v[34:35] op_sel:[0,0,1] op_sel_hi:[1,0,0] neg_lo:[0,0,1] neg_hi:[0,0,1]
	v_pk_add_f32 v[36:37], v[40:41], v[36:37]
	v_mul_u32_u24_e32 v2, 26, v2
	v_mov_b32_e32 v88, v22
	v_mov_b32_e32 v89, v35
	v_pk_add_f32 v[36:37], v[36:37], v[38:39]
	v_or_b32_e32 v2, v2, v29
	v_pk_add_f32 v[82:83], v[88:89], v[82:83]
	v_pk_add_f32 v[36:37], v[36:37], v[60:61]
	v_lshl_add_u32 v2, v2, 3, 0
	v_pk_mul_f32 v[38:39], v[64:65], s[10:11] op_sel_hi:[1,0]
	ds_write2_b64 v2, v[36:37], v[82:83] offset1:2
	v_pk_fma_f32 v[36:37], v[62:63], s[2:3], v[38:39] op_sel:[0,0,1] op_sel_hi:[1,0,0]
	v_pk_fma_f32 v[38:39], v[62:63], s[2:3], v[38:39] op_sel:[0,0,1] op_sel_hi:[1,0,0] neg_lo:[0,0,1] neg_hi:[0,0,1]
	v_mov_b32_e32 v40, v36
	v_mov_b32_e32 v41, v39
	v_pk_mul_f32 v[42:43], v[68:69], s[16:17] op_sel_hi:[1,0]
	v_pk_add_f32 v[44:45], v[0:1], v[40:41]
	v_pk_fma_f32 v[40:41], v[66:67], s[14:15], v[42:43] op_sel:[0,0,1] op_sel_hi:[1,0,0]
	v_pk_fma_f32 v[42:43], v[66:67], s[14:15], v[42:43] op_sel:[0,0,1] op_sel_hi:[1,0,0] neg_lo:[0,0,1] neg_hi:[0,0,1]
	v_mov_b32_e32 v46, v40
	v_mov_b32_e32 v47, v43
	v_pk_add_f32 v[48:49], v[46:47], v[44:45]
	v_pk_mul_f32 v[46:47], v[72:73], s[24:25] op_sel_hi:[1,0]
	v_pk_mul_f32 v[94:95], v[68:69], s[24:25] op_sel_hi:[1,0]
	v_pk_fma_f32 v[44:45], v[70:71], s[22:23], v[46:47] op_sel:[0,0,1] op_sel_hi:[1,0,0]
	v_pk_fma_f32 v[46:47], v[70:71], s[22:23], v[46:47] op_sel:[0,0,1] op_sel_hi:[1,0,0] neg_lo:[0,0,1] neg_hi:[0,0,1]
	v_mov_b32_e32 v50, v44
	v_mov_b32_e32 v51, v47
	v_pk_add_f32 v[52:53], v[50:51], v[48:49]
	v_pk_mul_f32 v[50:51], v[76:77], s[34:35] op_sel_hi:[1,0]
	v_pk_fma_f32 v[96:97], v[66:67], s[22:23], v[94:95] op_sel:[0,0,1] op_sel_hi:[1,0,0]
	v_pk_fma_f32 v[48:49], v[74:75], s[18:19], v[50:51] op_sel:[0,0,1] op_sel_hi:[1,0,0]
	v_pk_fma_f32 v[50:51], v[74:75], s[18:19], v[50:51] op_sel:[0,0,1] op_sel_hi:[1,0,0] neg_lo:[0,0,1] neg_hi:[0,0,1]
	v_mov_b32_e32 v54, v48
	v_mov_b32_e32 v55, v51
	v_pk_add_f32 v[58:59], v[54:55], v[52:53]
	v_pk_mul_f32 v[54:55], v[80:81], s[26:27] op_sel_hi:[1,0]
	v_pk_fma_f32 v[94:95], v[66:67], s[22:23], v[94:95] op_sel:[0,0,1] op_sel_hi:[1,0,0] neg_lo:[0,0,1] neg_hi:[0,0,1]
	v_pk_fma_f32 v[52:53], v[78:79], s[12:13], v[54:55] op_sel:[0,0,1] op_sel_hi:[1,0,0]
	v_pk_fma_f32 v[54:55], v[78:79], s[12:13], v[54:55] op_sel:[0,0,1] op_sel_hi:[1,0,0] neg_lo:[0,0,1] neg_hi:[0,0,1]
	v_mov_b32_e32 v60, v52
	v_mov_b32_e32 v61, v55
	v_pk_add_f32 v[58:59], v[60:61], v[58:59]
	v_pk_mul_f32 v[60:61], v[86:87], s[30:31] op_sel_hi:[1,0]
	v_mov_b32_e32 v98, v96
	v_pk_fma_f32 v[82:83], v[84:85], s[8:9], v[60:61] op_sel:[0,0,1] op_sel_hi:[1,0,0]
	v_pk_fma_f32 v[60:61], v[84:85], s[8:9], v[60:61] op_sel:[0,0,1] op_sel_hi:[1,0,0] neg_lo:[0,0,1] neg_hi:[0,0,1]
	v_mov_b32_e32 v88, v82
	v_mov_b32_e32 v89, v61
	v_pk_add_f32 v[58:59], v[88:89], v[58:59]
	v_pk_mul_f32 v[88:89], v[64:65], s[28:29] op_sel_hi:[1,0]
	v_mov_b32_e32 v99, v95
	v_pk_fma_f32 v[90:91], v[62:63], s[12:13], v[88:89] op_sel:[0,0,1] op_sel_hi:[1,0,0]
	v_pk_fma_f32 v[88:89], v[62:63], s[12:13], v[88:89] op_sel:[0,0,1] op_sel_hi:[1,0,0] neg_lo:[0,0,1] neg_hi:[0,0,1]
	v_mov_b32_e32 v92, v90
	v_mov_b32_e32 v93, v89
	v_pk_add_f32 v[92:93], v[0:1], v[92:93]
	v_pk_mul_f32 v[116:117], v[68:69], s[34:35] op_sel_hi:[1,0]
	v_pk_add_f32 v[92:93], v[98:99], v[92:93]
	v_pk_mul_f32 v[98:99], v[72:73], s[36:37] op_sel_hi:[1,0]
	v_pk_fma_f32 v[118:119], v[66:67], s[18:19], v[116:117] op_sel:[0,0,1] op_sel_hi:[1,0,0]
	v_pk_fma_f32 v[100:101], v[70:71], s[14:15], v[98:99] op_sel:[0,0,1] op_sel_hi:[1,0,0]
	v_pk_fma_f32 v[98:99], v[70:71], s[14:15], v[98:99] op_sel:[0,0,1] op_sel_hi:[1,0,0] neg_lo:[0,0,1] neg_hi:[0,0,1]
	v_mov_b32_e32 v102, v100
	v_mov_b32_e32 v103, v99
	v_pk_add_f32 v[92:93], v[102:103], v[92:93]
	v_pk_mul_f32 v[102:103], v[76:77], s[30:31] op_sel_hi:[1,0]
	v_pk_fma_f32 v[116:117], v[66:67], s[18:19], v[116:117] op_sel:[0,0,1] op_sel_hi:[1,0,0] neg_lo:[0,0,1] neg_hi:[0,0,1]
	v_pk_fma_f32 v[104:105], v[74:75], s[8:9], v[102:103] op_sel:[0,0,1] op_sel_hi:[1,0,0]
	v_pk_fma_f32 v[102:103], v[74:75], s[8:9], v[102:103] op_sel:[0,0,1] op_sel_hi:[1,0,0] neg_lo:[0,0,1] neg_hi:[0,0,1]
	v_mov_b32_e32 v106, v104
	v_mov_b32_e32 v107, v103
	v_pk_add_f32 v[92:93], v[106:107], v[92:93]
	v_pk_mul_f32 v[106:107], v[80:81], s[10:11] op_sel_hi:[1,0]
	v_mov_b32_e32 v120, v118
	v_pk_fma_f32 v[108:109], v[78:79], s[2:3], v[106:107] op_sel:[0,0,1] op_sel_hi:[1,0,0]
	v_pk_fma_f32 v[106:107], v[78:79], s[2:3], v[106:107] op_sel:[0,0,1] op_sel_hi:[1,0,0] neg_lo:[0,0,1] neg_hi:[0,0,1]
	v_mov_b32_e32 v110, v108
	v_mov_b32_e32 v111, v107
	v_pk_add_f32 v[92:93], v[110:111], v[92:93]
	v_pk_mul_f32 v[110:111], v[86:87], s[20:21] op_sel_hi:[1,0]
	v_mov_b32_e32 v121, v117
	v_pk_fma_f32 v[112:113], v[84:85], s[18:19], v[110:111] op_sel:[0,0,1] op_sel_hi:[1,0,0]
	v_pk_fma_f32 v[110:111], v[84:85], s[18:19], v[110:111] op_sel:[0,0,1] op_sel_hi:[1,0,0] neg_lo:[0,0,1] neg_hi:[0,0,1]
	v_mov_b32_e32 v114, v112
	v_mov_b32_e32 v115, v111
	v_pk_add_f32 v[92:93], v[114:115], v[92:93]
	ds_write2_b64 v2, v[58:59], v[92:93] offset0:4 offset1:6
	v_pk_mul_f32 v[58:59], v[64:65], s[16:17] op_sel_hi:[1,0]
	s_mov_b32 s34, 0x3f52af12
	v_pk_fma_f32 v[92:93], v[62:63], s[14:15], v[58:59] op_sel:[0,0,1] op_sel_hi:[1,0,0]
	v_pk_fma_f32 v[58:59], v[62:63], s[14:15], v[58:59] op_sel:[0,0,1] op_sel_hi:[1,0,0] neg_lo:[0,0,1] neg_hi:[0,0,1]
	v_mov_b32_e32 v114, v92
	v_mov_b32_e32 v115, v59
	v_pk_add_f32 v[114:115], v[0:1], v[114:115]
	v_pk_mul_f32 v[142:143], v[68:69], s[26:27] op_sel_hi:[1,0]
	v_pk_add_f32 v[114:115], v[120:121], v[114:115]
	v_pk_mul_f32 v[120:121], v[72:73], s[30:31] op_sel_hi:[1,0]
	v_pk_fma_f32 v[144:145], v[66:67], s[12:13], v[142:143] op_sel:[0,0,1] op_sel_hi:[1,0,0]
	v_pk_fma_f32 v[122:123], v[70:71], s[8:9], v[120:121] op_sel:[0,0,1] op_sel_hi:[1,0,0]
	v_pk_fma_f32 v[120:121], v[70:71], s[8:9], v[120:121] op_sel:[0,0,1] op_sel_hi:[1,0,0] neg_lo:[0,0,1] neg_hi:[0,0,1]
	v_mov_b32_e32 v124, v122
	v_mov_b32_e32 v125, v121
	v_pk_add_f32 v[114:115], v[124:125], v[114:115]
	v_pk_mul_f32 v[124:125], v[76:77], s[28:29] op_sel_hi:[1,0]
	s_mov_b32 s28, 0x3e750f2a
	v_pk_fma_f32 v[126:127], v[74:75], s[12:13], v[124:125] op_sel:[0,0,1] op_sel_hi:[1,0,0]
	v_pk_fma_f32 v[124:125], v[74:75], s[12:13], v[124:125] op_sel:[0,0,1] op_sel_hi:[1,0,0] neg_lo:[0,0,1] neg_hi:[0,0,1]
	v_mov_b32_e32 v128, v126
	v_mov_b32_e32 v129, v125
	v_pk_add_f32 v[114:115], v[128:129], v[114:115]
	v_pk_mul_f32 v[128:129], v[80:81], s[28:29] op_sel_hi:[1,0]
	v_pk_fma_f32 v[142:143], v[66:67], s[12:13], v[142:143] op_sel:[0,0,1] op_sel_hi:[1,0,0] neg_lo:[0,0,1] neg_hi:[0,0,1]
	v_pk_fma_f32 v[130:131], v[78:79], s[22:23], v[128:129] op_sel:[0,0,1] op_sel_hi:[1,0,0]
	v_pk_fma_f32 v[128:129], v[78:79], s[22:23], v[128:129] op_sel:[0,0,1] op_sel_hi:[1,0,0] neg_lo:[0,0,1] neg_hi:[0,0,1]
	v_mov_b32_e32 v132, v130
	v_mov_b32_e32 v133, v129
	v_pk_add_f32 v[114:115], v[132:133], v[114:115]
	v_pk_mul_f32 v[132:133], v[86:87], s[34:35] op_sel_hi:[1,0]
	v_mov_b32_e32 v146, v144
	v_pk_fma_f32 v[134:135], v[84:85], s[2:3], v[132:133] op_sel:[0,0,1] op_sel_hi:[1,0,0]
	v_pk_fma_f32 v[132:133], v[84:85], s[2:3], v[132:133] op_sel:[0,0,1] op_sel_hi:[1,0,0] neg_lo:[0,0,1] neg_hi:[0,0,1]
	v_mov_b32_e32 v136, v134
	v_mov_b32_e32 v137, v133
	v_pk_add_f32 v[114:115], v[136:137], v[114:115]
	v_pk_mul_f32 v[136:137], v[64:65], s[20:21] op_sel_hi:[1,0]
	v_mov_b32_e32 v147, v143
	v_pk_fma_f32 v[138:139], v[62:63], s[18:19], v[136:137] op_sel:[0,0,1] op_sel_hi:[1,0,0]
	v_pk_fma_f32 v[136:137], v[62:63], s[18:19], v[136:137] op_sel:[0,0,1] op_sel_hi:[1,0,0] neg_lo:[0,0,1] neg_hi:[0,0,1]
	v_mov_b32_e32 v140, v138
	v_mov_b32_e32 v141, v137
	v_pk_add_f32 v[140:141], v[0:1], v[140:141]
	v_pk_mul_f32 v[64:65], v[64:65], s[24:25] op_sel_hi:[1,0]
	v_pk_add_f32 v[140:141], v[146:147], v[140:141]
	v_pk_mul_f32 v[146:147], v[72:73], s[10:11] op_sel_hi:[1,0]
	v_pk_mul_f32 v[72:73], v[72:73], s[20:21] op_sel_hi:[1,0]
	v_pk_fma_f32 v[148:149], v[70:71], s[2:3], v[146:147] op_sel:[0,0,1] op_sel_hi:[1,0,0]
	v_pk_fma_f32 v[146:147], v[70:71], s[2:3], v[146:147] op_sel:[0,0,1] op_sel_hi:[1,0,0] neg_lo:[0,0,1] neg_hi:[0,0,1]
	v_mov_b32_e32 v150, v148
	v_mov_b32_e32 v151, v147
	v_pk_add_f32 v[140:141], v[150:151], v[140:141]
	v_pk_mul_f32 v[150:151], v[76:77], s[28:29] op_sel_hi:[1,0]
	v_mov_b32_e32 v137, v139
	v_pk_fma_f32 v[152:153], v[74:75], s[22:23], v[150:151] op_sel:[0,0,1] op_sel_hi:[1,0,0]
	v_pk_fma_f32 v[150:151], v[74:75], s[22:23], v[150:151] op_sel:[0,0,1] op_sel_hi:[1,0,0] neg_lo:[0,0,1] neg_hi:[0,0,1]
	v_mov_b32_e32 v154, v152
	v_mov_b32_e32 v155, v151
	v_pk_add_f32 v[140:141], v[154:155], v[140:141]
	v_pk_mul_f32 v[154:155], v[80:81], s[30:31] op_sel_hi:[1,0]
	v_mov_b32_e32 v59, v93
	;; [unrolled: 7-line block ×3, first 2 shown]
	v_pk_fma_f32 v[160:161], v[84:85], s[14:15], v[158:159] op_sel:[0,0,1] op_sel_hi:[1,0,0]
	v_pk_fma_f32 v[158:159], v[84:85], s[14:15], v[158:159] op_sel:[0,0,1] op_sel_hi:[1,0,0] neg_lo:[0,0,1] neg_hi:[0,0,1]
	v_mov_b32_e32 v162, v160
	v_mov_b32_e32 v163, v159
	v_pk_add_f32 v[140:141], v[162:163], v[140:141]
	ds_write2_b64 v2, v[114:115], v[140:141] offset0:8 offset1:10
	v_pk_fma_f32 v[114:115], v[62:63], s[22:23], v[64:65] op_sel:[0,0,1] op_sel_hi:[1,0,0]
	v_pk_fma_f32 v[62:63], v[62:63], s[22:23], v[64:65] op_sel:[0,0,1] op_sel_hi:[1,0,0] neg_lo:[0,0,1] neg_hi:[0,0,1]
	v_pk_mul_f32 v[64:65], v[68:69], s[30:31] op_sel_hi:[1,0]
	v_mov_b32_e32 v117, v119
	v_pk_fma_f32 v[68:69], v[66:67], s[8:9], v[64:65] op_sel:[0,0,1] op_sel_hi:[1,0,0]
	v_pk_fma_f32 v[64:65], v[66:67], s[8:9], v[64:65] op_sel:[0,0,1] op_sel_hi:[1,0,0] neg_lo:[0,0,1] neg_hi:[0,0,1]
	v_mov_b32_e32 v66, v114
	v_mov_b32_e32 v67, v63
	v_pk_add_f32 v[66:67], v[0:1], v[66:67]
	v_mov_b32_e32 v140, v68
	v_mov_b32_e32 v141, v65
	v_pk_add_f32 v[66:67], v[140:141], v[66:67]
	v_pk_fma_f32 v[140:141], v[70:71], s[18:19], v[72:73] op_sel:[0,0,1] op_sel_hi:[1,0,0]
	v_pk_fma_f32 v[70:71], v[70:71], s[18:19], v[72:73] op_sel:[0,0,1] op_sel_hi:[1,0,0] neg_lo:[0,0,1] neg_hi:[0,0,1]
	v_mov_b32_e32 v72, v140
	v_mov_b32_e32 v73, v71
	v_pk_add_f32 v[66:67], v[72:73], v[66:67]
	v_pk_mul_f32 v[72:73], v[76:77], s[34:35] op_sel_hi:[1,0]
	v_mov_b32_e32 v63, v115
	v_pk_fma_f32 v[76:77], v[74:75], s[2:3], v[72:73] op_sel:[0,0,1] op_sel_hi:[1,0,0]
	v_pk_fma_f32 v[72:73], v[74:75], s[2:3], v[72:73] op_sel:[0,0,1] op_sel_hi:[1,0,0] neg_lo:[0,0,1] neg_hi:[0,0,1]
	v_mov_b32_e32 v74, v76
	v_mov_b32_e32 v75, v73
	v_pk_add_f32 v[66:67], v[74:75], v[66:67]
	v_pk_mul_f32 v[74:75], v[80:81], s[16:17] op_sel_hi:[1,0]
	v_mov_b32_e32 v65, v69
	v_pk_fma_f32 v[80:81], v[78:79], s[14:15], v[74:75] op_sel:[0,0,1] op_sel_hi:[1,0,0]
	v_pk_fma_f32 v[74:75], v[78:79], s[14:15], v[74:75] op_sel:[0,0,1] op_sel_hi:[1,0,0] neg_lo:[0,0,1] neg_hi:[0,0,1]
	v_pk_add_f32 v[62:63], v[0:1], v[62:63]
	v_mov_b32_e32 v78, v80
	v_mov_b32_e32 v79, v75
	v_pk_add_f32 v[62:63], v[64:65], v[62:63]
	v_mov_b32_e32 v71, v141
	v_pk_add_f32 v[66:67], v[78:79], v[66:67]
	v_pk_mul_f32 v[78:79], v[86:87], s[26:27] op_sel_hi:[1,0]
	v_pk_add_f32 v[62:63], v[70:71], v[62:63]
	v_mov_b32_e32 v73, v77
	v_pk_fma_f32 v[86:87], v[84:85], s[12:13], v[78:79] op_sel:[0,0,1] op_sel_hi:[1,0,0]
	v_pk_fma_f32 v[78:79], v[84:85], s[12:13], v[78:79] op_sel:[0,0,1] op_sel_hi:[1,0,0] neg_lo:[0,0,1] neg_hi:[0,0,1]
	v_pk_add_f32 v[62:63], v[72:73], v[62:63]
	v_mov_b32_e32 v75, v81
	v_mov_b32_e32 v84, v86
	;; [unrolled: 1-line block ×3, first 2 shown]
	v_pk_add_f32 v[62:63], v[74:75], v[62:63]
	v_mov_b32_e32 v79, v87
	v_pk_add_f32 v[66:67], v[84:85], v[66:67]
	v_pk_add_f32 v[62:63], v[78:79], v[62:63]
	ds_write2_b64 v2, v[66:67], v[62:63] offset0:12 offset1:14
	v_pk_add_f32 v[62:63], v[0:1], v[136:137]
	v_pk_add_f32 v[58:59], v[0:1], v[58:59]
	;; [unrolled: 1-line block ×3, first 2 shown]
	v_mov_b32_e32 v147, v149
	v_pk_add_f32 v[58:59], v[116:117], v[58:59]
	v_mov_b32_e32 v121, v123
	v_pk_add_f32 v[62:63], v[146:147], v[62:63]
	;; [unrolled: 2-line block ×8, first 2 shown]
	v_pk_add_f32 v[58:59], v[132:133], v[58:59]
	v_mov_b32_e32 v89, v91
	v_mov_b32_e32 v39, v37
	;; [unrolled: 1-line block ×3, first 2 shown]
	ds_write2_b64 v2, v[62:63], v[58:59] offset0:16 offset1:18
	v_mov_b32_e32 v95, v97
	v_pk_add_f32 v[58:59], v[0:1], v[88:89]
	v_pk_add_f32 v[36:37], v[0:1], v[38:39]
	v_mov_b32_e32 v43, v41
	v_pk_add_f32 v[0:1], v[0:1], v[6:7]
	v_mov_b32_e32 v9, v3
	;; [unrolled: 2-line block ×14, first 2 shown]
	v_pk_add_f32 v[58:59], v[110:111], v[58:59]
	v_pk_add_f32 v[36:37], v[60:61], v[36:37]
	;; [unrolled: 1-line block ×3, first 2 shown]
	ds_write2_b64 v2, v[58:59], v[36:37] offset0:20 offset1:22
	ds_write_b64 v2, v[0:1] offset:192
.LBB0_19:
	s_or_b64 exec, exec, s[6:7]
	s_movk_i32 s2, 0x4f
	v_mul_lo_u16_sdwa v0, v24, s2 dst_sel:DWORD dst_unused:UNUSED_PAD src0_sel:BYTE_0 src1_sel:DWORD
	v_lshrrev_b16_e32 v7, 11, v0
	v_mul_lo_u16_e32 v0, 26, v7
	v_sub_u16_e32 v29, v24, v0
	v_mov_b32_e32 v0, 6
	v_mul_u32_u24_sdwa v0, v29, v0 dst_sel:DWORD dst_unused:UNUSED_PAD src0_sel:BYTE_0 src1_sel:DWORD
	v_lshlrev_b32_e32 v4, 3, v0
	s_waitcnt lgkmcnt(0)
	s_barrier
	global_load_dwordx4 v[0:3], v4, s[4:5] offset:208
	global_load_dwordx4 v[8:11], v4, s[4:5] offset:192
	;; [unrolled: 1-line block ×3, first 2 shown]
	v_lshl_add_u32 v5, v32, 3, 0
	ds_read_b64 v[20:21], v56
	v_lshl_add_u32 v6, v28, 3, 0
	v_lshl_add_u32 v4, v30, 3, 0
	v_add_u32_e32 v31, 0x1600, v56
	ds_read_b64 v[22:23], v5
	ds_read_b64 v[34:35], v4
	ds_read2_b64 v[16:19], v31 offset0:24 offset1:206
	ds_read_b64 v[36:37], v6
	ds_read_b64 v[38:39], v56 offset:8736
	s_waitcnt lgkmcnt(4)
	v_mov_b32_e32 v42, v23
	s_mov_b32 s8, 0x3f08b237
	s_waitcnt lgkmcnt(2)
	v_mov_b32_e32 v44, v19
	s_waitcnt lgkmcnt(1)
	v_mov_b32_e32 v40, v37
	s_waitcnt lgkmcnt(0)
	v_mov_b32_e32 v46, v39
	s_mov_b32 s16, 0x3d64c772
	s_mov_b32 s9, 0xbeae86e6
	s_mov_b32 s17, 0x3f4a47b2
	s_mov_b32 s6, s9
	s_mov_b32 s7, s8
	s_mov_b32 s14, 0x3f955555
	s_mov_b32 s18, s17
	s_mov_b32 s19, s16
	s_mov_b32 s2, 0xbee1c552
	v_mov_b32_e32 v33, 3
	s_mov_b32 s10, 0xbf5ff5aa
	s_mov_b32 s12, 0x3f3bfb3b
	v_mul_u32_u24_e32 v7, 0x5b0, v7
	v_lshlrev_b32_sdwa v29, v33, v29 dst_sel:DWORD dst_unused:UNUSED_PAD src0_sel:DWORD src1_sel:BYTE_0
	v_add3_u32 v7, 0, v7, v29
	s_barrier
	s_waitcnt vmcnt(2)
	v_mul_f32_e32 v52, v3, v17
	v_mul_f32_e32 v3, v3, v16
	s_waitcnt vmcnt(1)
	v_pk_mul_f32 v[54:55], v[8:9], v[36:37] op_sel_hi:[1,0]
	v_pk_mul_f32 v[58:59], v[10:11], v[22:23] op_sel_hi:[1,0]
	s_waitcnt vmcnt(0)
	v_pk_mul_f32 v[60:61], v[12:13], v[18:19] op_sel_hi:[1,0]
	v_pk_mul_f32 v[62:63], v[14:15], v[38:39] op_sel_hi:[1,0]
	v_mul_f32_e32 v48, v0, v34
	v_mul_f32_e32 v50, v1, v35
	;; [unrolled: 1-line block ×4, first 2 shown]
	v_fma_f32 v2, v2, v17, -v3
	v_pk_fma_f32 v[16:17], v[8:9], v[40:41], v[54:55] op_sel:[0,0,1] op_sel_hi:[1,1,0] neg_lo:[0,0,1] neg_hi:[0,0,1]
	v_pk_fma_f32 v[8:9], v[8:9], v[36:37], v[54:55] op_sel:[0,1,1] op_sel_hi:[1,1,0]
	v_pk_fma_f32 v[36:37], v[10:11], v[42:43], v[58:59] op_sel:[0,0,1] op_sel_hi:[1,1,0] neg_lo:[0,0,1] neg_hi:[0,0,1]
	v_pk_fma_f32 v[10:11], v[10:11], v[22:23], v[58:59] op_sel:[0,1,1] op_sel_hi:[1,1,0]
	;; [unrolled: 2-line block ×4, first 2 shown]
	v_fma_f32 v0, v0, v35, -v1
	v_mov_b32_e32 v17, v9
	v_mov_b32_e32 v37, v11
	;; [unrolled: 1-line block ×8, first 2 shown]
	v_pk_add_f32 v[12:13], v[16:17], v[18:19]
	v_pk_add_f32 v[14:15], v[16:17], v[18:19] neg_lo:[0,1] neg_hi:[0,1]
	v_pk_add_f32 v[16:17], v[36:37], v[22:23]
	v_pk_add_f32 v[18:19], v[36:37], v[22:23] neg_lo:[0,1] neg_hi:[0,1]
	v_pk_add_f32 v[22:23], v[34:35], v[52:53]
	v_pk_add_f32 v[34:35], v[48:49], v[50:51]
	v_mov_b32_e32 v3, v22
	v_mov_b32_e32 v1, v34
	;; [unrolled: 1-line block ×3, first 2 shown]
	v_pk_add_f32 v[0:1], v[2:3], v[0:1] neg_lo:[0,1] neg_hi:[0,1]
	v_mov_b32_e32 v11, v2
	v_mov_b32_e32 v37, v15
	;; [unrolled: 1-line block ×9, first 2 shown]
	v_pk_add_f32 v[2:3], v[8:9], v[10:11]
	v_mov_b32_e32 v41, v1
	v_mov_b32_e32 v42, v0
	v_pk_add_f32 v[8:9], v[36:37], v[38:39] neg_lo:[0,1] neg_hi:[0,1]
	v_pk_add_f32 v[38:39], v[34:35], v[22:23]
	v_pk_add_f32 v[10:11], v[40:41], v[42:43] neg_lo:[0,1] neg_hi:[0,1]
	v_mov_b32_e32 v22, v38
	v_mov_b32_e32 v40, v17
	;; [unrolled: 1-line block ×3, first 2 shown]
	v_pk_add_f32 v[40:41], v[22:23], v[40:41] neg_lo:[0,1] neg_hi:[0,1]
	v_mov_b32_e32 v42, v13
	v_mov_b32_e32 v43, v3
	;; [unrolled: 1-line block ×3, first 2 shown]
	v_pk_add_f32 v[2:3], v[2:3], v[38:39]
	v_pk_add_f32 v[0:1], v[0:1], v[18:19]
	v_pk_mul_f32 v[8:9], v[8:9], s[8:9]
	v_pk_add_f32 v[42:43], v[42:43], v[34:35] neg_lo:[0,1] neg_hi:[0,1]
	v_pk_add_f32 v[20:21], v[2:3], v[20:21]
	v_pk_mul_f32 v[38:39], v[40:41], s[16:17]
	v_pk_add_f32 v[0:1], v[0:1], v[14:15]
	v_pk_mul_f32 v[36:37], v[10:11], s[6:7]
	v_pk_mul_f32 v[40:41], v[42:43], s[18:19]
	v_pk_fma_f32 v[2:3], v[2:3], s[14:15], v[20:21] op_sel_hi:[1,0,1] neg_lo:[1,0,0] neg_hi:[1,0,0]
	v_pk_fma_f32 v[42:43], v[42:43], s[18:19], v[38:39]
	v_pk_fma_f32 v[10:11], v[10:11], s[6:7], v[8:9]
	v_mov_b32_e32 v34, v17
	v_mov_b32_e32 v22, v13
	v_pk_add_f32 v[42:43], v[42:43], v[2:3]
	v_pk_fma_f32 v[10:11], v[0:1], s[2:3], v[10:11] op_sel_hi:[1,0,1]
	v_pk_add_f32 v[14:15], v[18:19], v[14:15] neg_lo:[0,1] neg_hi:[0,1]
	v_pk_add_f32 v[12:13], v[34:35], v[22:23] neg_lo:[0,1] neg_hi:[0,1]
	v_mov_b32_e32 v16, v40
	v_mov_b32_e32 v17, v39
	;; [unrolled: 1-line block ×6, first 2 shown]
	v_pk_add_f32 v[44:45], v[42:43], v[10:11]
	v_pk_add_f32 v[10:11], v[42:43], v[10:11] neg_lo:[0,1] neg_hi:[0,1]
	v_pk_fma_f32 v[16:17], v[12:13], s[12:13], v[16:17] op_sel_hi:[1,0,1] neg_lo:[1,0,1] neg_hi:[1,0,1]
	v_pk_fma_f32 v[18:19], v[14:15], s[10:11], v[18:19] op_sel_hi:[1,0,1] neg_lo:[1,0,1] neg_hi:[1,0,1]
	;; [unrolled: 1-line block ×4, first 2 shown]
	v_mov_b32_e32 v42, v44
	v_mov_b32_e32 v43, v11
	v_pk_add_f32 v[16:17], v[16:17], v[2:3]
	v_pk_fma_f32 v[18:19], v[0:1], s[2:3], v[18:19] op_sel_hi:[1,0,1]
	v_pk_add_f32 v[2:3], v[12:13], v[2:3]
	v_pk_fma_f32 v[0:1], v[0:1], s[2:3], v[8:9] op_sel_hi:[1,0,1]
	ds_write2_b64 v7, v[20:21], v[42:43] offset1:26
	v_pk_add_f32 v[20:21], v[16:17], v[18:19]
	v_pk_add_f32 v[16:17], v[16:17], v[18:19] neg_lo:[0,1] neg_hi:[0,1]
	v_pk_add_f32 v[8:9], v[2:3], v[0:1] neg_lo:[0,1] neg_hi:[0,1]
	v_pk_add_f32 v[0:1], v[2:3], v[0:1]
	v_mov_b32_e32 v19, v17
	v_mov_b32_e32 v3, v1
	;; [unrolled: 1-line block ×6, first 2 shown]
	ds_write2_b64 v7, v[0:1], v[16:17] offset0:104 offset1:130
	v_mov_b32_e32 v11, v45
	v_mul_u32_u24_e32 v0, 6, v24
	ds_write2_b64 v7, v[18:19], v[2:3] offset0:52 offset1:78
	ds_write_b64 v7, v[10:11] offset:1248
	v_lshlrev_b32_e32 v7, 3, v0
	s_waitcnt lgkmcnt(0)
	s_barrier
	global_load_dwordx4 v[0:3], v7, s[4:5] offset:1456
	global_load_dwordx4 v[8:11], v7, s[4:5] offset:1440
	;; [unrolled: 1-line block ×3, first 2 shown]
	ds_read_b64 v[20:21], v56
	ds_read_b64 v[22:23], v6
	;; [unrolled: 1-line block ×4, first 2 shown]
	ds_read2_b64 v[16:19], v31 offset0:24 offset1:206
	ds_read_b64 v[38:39], v56 offset:8736
	s_waitcnt lgkmcnt(4)
	v_mov_b32_e32 v40, v23
	s_waitcnt lgkmcnt(0)
	s_barrier
	s_add_u32 s4, s4, 0x27c0
	s_addc_u32 s5, s5, 0
	v_sub_u32_e32 v7, 0, v25
	s_waitcnt vmcnt(2)
	v_mul_f32_e32 v46, v3, v17
	v_mul_f32_e32 v3, v3, v16
	s_waitcnt vmcnt(1)
	v_pk_mul_f32 v[48:49], v[8:9], v[22:23] op_sel_hi:[1,0]
	v_mul_f32_e32 v42, v0, v34
	v_mul_f32_e32 v44, v1, v35
	;; [unrolled: 1-line block ×4, first 2 shown]
	v_fma_f32 v2, v2, v17, -v3
	v_pk_fma_f32 v[16:17], v[8:9], v[40:41], v[48:49] op_sel:[0,0,1] op_sel_hi:[1,1,0] neg_lo:[0,0,1] neg_hi:[0,0,1]
	v_pk_fma_f32 v[8:9], v[8:9], v[22:23], v[48:49] op_sel:[0,1,1] op_sel_hi:[1,1,0]
	v_pk_mul_f32 v[22:23], v[10:11], v[36:37] op_sel_hi:[1,0]
	v_mov_b32_e32 v8, v37
	v_mov_b32_e32 v17, v9
	v_pk_fma_f32 v[8:9], v[10:11], v[8:9], v[22:23] op_sel:[0,0,1] op_sel_hi:[1,1,0] neg_lo:[0,0,1] neg_hi:[0,0,1]
	v_pk_fma_f32 v[10:11], v[10:11], v[36:37], v[22:23] op_sel:[0,1,1] op_sel_hi:[1,1,0]
	s_waitcnt vmcnt(0)
	v_pk_mul_f32 v[22:23], v[12:13], v[18:19] op_sel_hi:[1,0]
	v_mov_b32_e32 v10, v19
	v_mov_b32_e32 v9, v11
	v_pk_fma_f32 v[10:11], v[12:13], v[10:11], v[22:23] op_sel:[0,0,1] op_sel_hi:[1,1,0] neg_lo:[0,0,1] neg_hi:[0,0,1]
	v_pk_fma_f32 v[12:13], v[12:13], v[18:19], v[22:23] op_sel:[0,1,1] op_sel_hi:[1,1,0]
	v_pk_mul_f32 v[18:19], v[14:15], v[38:39] op_sel_hi:[1,0]
	v_mov_b32_e32 v12, v39
	v_mov_b32_e32 v11, v13
	v_pk_fma_f32 v[12:13], v[14:15], v[12:13], v[18:19] op_sel:[0,0,1] op_sel_hi:[1,1,0] neg_lo:[0,0,1] neg_hi:[0,0,1]
	v_pk_fma_f32 v[14:15], v[14:15], v[38:39], v[18:19] op_sel:[0,1,1] op_sel_hi:[1,1,0]
	v_fma_f32 v0, v0, v35, -v1
	v_mov_b32_e32 v13, v15
	v_mov_b32_e32 v35, v16
	;; [unrolled: 1-line block ×5, first 2 shown]
	v_pk_add_f32 v[14:15], v[16:17], v[12:13]
	v_pk_add_f32 v[18:19], v[16:17], v[12:13] neg_lo:[0,1] neg_hi:[0,1]
	v_pk_add_f32 v[22:23], v[8:9], v[10:11]
	v_pk_add_f32 v[36:37], v[8:9], v[10:11] neg_lo:[0,1] neg_hi:[0,1]
	v_pk_add_f32 v[12:13], v[34:35], v[46:47]
	v_pk_add_f32 v[8:9], v[42:43], v[44:45]
	v_mov_b32_e32 v3, v12
	v_mov_b32_e32 v1, v8
	v_pk_add_f32 v[10:11], v[2:3], v[0:1] neg_lo:[0,1] neg_hi:[0,1]
	v_mov_b32_e32 v40, v23
	v_mov_b32_e32 v41, v0
	;; [unrolled: 1-line block ×4, first 2 shown]
	v_pk_add_f32 v[0:1], v[40:41], v[0:1]
	v_pk_add_f32 v[2:3], v[8:9], v[12:13]
	v_mov_b32_e32 v16, v10
	v_mov_b32_e32 v17, v19
	v_mov_b32_e32 v34, v36
	v_mov_b32_e32 v35, v11
	v_mov_b32_e32 v12, v2
	v_mov_b32_e32 v41, v1
	v_pk_add_f32 v[16:17], v[16:17], v[34:35] neg_lo:[0,1] neg_hi:[0,1]
	v_mov_b32_e32 v34, v18
	v_mov_b32_e32 v38, v10
	;; [unrolled: 1-line block ×3, first 2 shown]
	v_pk_add_f32 v[40:41], v[12:13], v[40:41] neg_lo:[0,1] neg_hi:[0,1]
	v_mov_b32_e32 v42, v15
	v_mov_b32_e32 v43, v1
	;; [unrolled: 1-line block ×3, first 2 shown]
	v_pk_add_f32 v[0:1], v[0:1], v[2:3]
	v_pk_mul_f32 v[16:17], v[16:17], s[8:9]
	v_pk_add_f32 v[34:35], v[34:35], v[38:39] neg_lo:[0,1] neg_hi:[0,1]
	v_pk_add_f32 v[10:11], v[10:11], v[36:37]
	v_pk_add_f32 v[42:43], v[42:43], v[8:9] neg_lo:[0,1] neg_hi:[0,1]
	v_pk_add_f32 v[2:3], v[0:1], v[20:21]
	v_pk_mul_f32 v[20:21], v[40:41], s[16:17]
	v_pk_mul_f32 v[38:39], v[34:35], s[6:7]
	v_pk_add_f32 v[10:11], v[10:11], v[18:19]
	v_pk_mul_f32 v[40:41], v[42:43], s[18:19]
	v_pk_fma_f32 v[0:1], v[0:1], s[14:15], v[2:3] op_sel_hi:[1,0,1] neg_lo:[1,0,0] neg_hi:[1,0,0]
	v_pk_fma_f32 v[42:43], v[42:43], s[18:19], v[20:21]
	v_pk_fma_f32 v[34:35], v[34:35], s[6:7], v[16:17]
	v_pk_add_f32 v[42:43], v[42:43], v[0:1]
	v_pk_fma_f32 v[34:35], v[10:11], s[2:3], v[34:35] op_sel_hi:[1,0,1]
	v_mov_b32_e32 v8, v23
	v_pk_add_f32 v[44:45], v[42:43], v[34:35]
	v_pk_add_f32 v[34:35], v[42:43], v[34:35] neg_lo:[0,1] neg_hi:[0,1]
	v_mov_b32_e32 v42, v44
	v_mov_b32_e32 v43, v35
	;; [unrolled: 1-line block ×3, first 2 shown]
	ds_write2_b64 v56, v[2:3], v[42:43] offset1:182
	v_pk_add_f32 v[2:3], v[36:37], v[18:19] neg_lo:[0,1] neg_hi:[0,1]
	v_pk_add_f32 v[8:9], v[8:9], v[12:13] neg_lo:[0,1] neg_hi:[0,1]
	v_mov_b32_e32 v12, v40
	v_mov_b32_e32 v13, v21
	;; [unrolled: 1-line block ×6, first 2 shown]
	v_pk_fma_f32 v[12:13], v[8:9], s[12:13], v[12:13] op_sel_hi:[1,0,1] neg_lo:[1,0,1] neg_hi:[1,0,1]
	v_pk_fma_f32 v[14:15], v[2:3], s[10:11], v[14:15] op_sel_hi:[1,0,1] neg_lo:[1,0,1] neg_hi:[1,0,1]
	;; [unrolled: 1-line block ×4, first 2 shown]
	v_pk_add_f32 v[12:13], v[12:13], v[0:1]
	v_pk_fma_f32 v[14:15], v[10:11], s[2:3], v[14:15] op_sel_hi:[1,0,1]
	v_pk_add_f32 v[0:1], v[8:9], v[0:1]
	v_pk_fma_f32 v[2:3], v[10:11], s[2:3], v[2:3] op_sel_hi:[1,0,1]
	v_pk_add_f32 v[18:19], v[12:13], v[14:15]
	v_pk_add_f32 v[12:13], v[12:13], v[14:15] neg_lo:[0,1] neg_hi:[0,1]
	v_pk_add_f32 v[8:9], v[0:1], v[2:3] neg_lo:[0,1] neg_hi:[0,1]
	v_pk_add_f32 v[0:1], v[0:1], v[2:3]
	v_mov_b32_e32 v14, v18
	v_mov_b32_e32 v15, v13
	;; [unrolled: 1-line block ×4, first 2 shown]
	v_add_u32_e32 v1, 0xa00, v56
	ds_write2_b64 v1, v[14:15], v[2:3] offset0:44 offset1:226
	v_mov_b32_e32 v1, v9
	v_mov_b32_e32 v13, v19
	;; [unrolled: 1-line block ×3, first 2 shown]
	ds_write2_b64 v31, v[0:1], v[12:13] offset0:24 offset1:206
	ds_write_b64 v56, v[34:35] offset:8736
	s_waitcnt lgkmcnt(0)
	s_barrier
	ds_read_b64 v[2:3], v56
	v_cmp_ne_u32_e64 s[2:3], 0, v24
                                        ; implicit-def: $vgpr1
                                        ; implicit-def: $vgpr0
	s_and_saveexec_b64 s[6:7], s[2:3]
	s_xor_b64 s[2:3], exec, s[6:7]
	s_cbranch_execz .LBB0_21
; %bb.20:
	v_mov_b32_e32 v25, 0
	v_lshl_add_u64 v[0:1], v[24:25], 3, s[4:5]
	global_load_dwordx2 v[0:1], v[0:1], off
	ds_read_b64 v[8:9], v7 offset:10192
	s_waitcnt lgkmcnt(0)
	v_pk_add_f32 v[10:11], v[8:9], v[2:3]
	v_pk_add_f32 v[2:3], v[2:3], v[8:9] neg_lo:[0,1] neg_hi:[0,1]
	v_pk_mul_f32 v[8:9], v[10:11], 0.5 op_sel_hi:[1,0]
	v_mul_f32_e32 v13, 0.5, v2
	v_mul_f32_e32 v14, 0.5, v3
	s_waitcnt vmcnt(0)
	v_mul_f32_e32 v2, v1, v13
	v_mov_b32_e32 v3, v0
	v_fma_f32 v12, v1, v13, v8
	v_fma_f32 v15, v9, v1, v14
	v_fma_f32 v1, v9, v1, -v14
	v_pk_mul_f32 v[8:9], v[8:9], v[2:3]
	v_pk_fma_f32 v[2:3], v[10:11], 0.5, v[2:3] op_sel_hi:[1,0,1] neg_lo:[0,0,1] neg_hi:[0,0,1]
	s_nop 0
	v_fma_f32 v3, -v0, v13, v15
	v_fma_f32 v0, -v0, v13, v1
	v_mov_b32_e32 v1, v2
	v_mov_b32_e32 v13, v9
	ds_write_b32 v56, v3 offset:4
	ds_write_b32 v7, v0 offset:10196
	v_pk_add_f32 v[0:1], v[0:1], v[12:13] neg_lo:[0,1] neg_hi:[0,1]
                                        ; implicit-def: $vgpr2_vgpr3
	s_nop 0
	v_add_f32_e32 v0, v9, v12
.LBB0_21:
	s_andn2_saveexec_b64 s[2:3], s[2:3]
	s_cbranch_execz .LBB0_23
; %bb.22:
	v_mov_b32_e32 v8, 0
	ds_write_b32 v56, v8 offset:4
	ds_write_b32 v7, v8 offset:10196
	ds_read_b32 v9, v8 offset:5100
	s_waitcnt lgkmcnt(3)
	v_pk_add_f32 v[0:1], v[2:3], v[2:3] op_sel:[0,1] op_sel_hi:[0,1] neg_lo:[0,1] neg_hi:[0,1]
	s_waitcnt lgkmcnt(0)
	v_xor_b32_e32 v0, 0x80000000, v9
	ds_write_b32 v8, v0 offset:5100
	v_add_f32_e32 v0, v2, v3
.LBB0_23:
	s_or_b64 exec, exec, s[2:3]
	v_mov_b32_e32 v29, 0
	s_waitcnt lgkmcnt(0)
	v_lshl_add_u64 v[2:3], v[28:29], 3, s[4:5]
	global_load_dwordx2 v[2:3], v[2:3], off
	v_mov_b32_e32 v33, v29
	v_lshl_add_u64 v[8:9], v[32:33], 3, s[4:5]
	global_load_dwordx2 v[8:9], v[8:9], off
	ds_write_b32 v56, v0
	ds_write_b32 v7, v1 offset:10192
	ds_read_b64 v[10:11], v6
	ds_read_b64 v[12:13], v7 offset:8736
	v_mov_b32_e32 v1, 0.5
	v_mov_b32_e32 v14, v1
	s_waitcnt lgkmcnt(0)
	v_pk_add_f32 v[16:17], v[10:11], v[12:13]
	v_pk_add_f32 v[10:11], v[10:11], v[12:13] neg_lo:[0,1] neg_hi:[0,1]
	v_mov_b32_e32 v12, v17
	v_mov_b32_e32 v13, v10
	v_pk_mul_f32 v[12:13], v[12:13], 0.5 op_sel_hi:[1,0]
	s_waitcnt vmcnt(1)
	v_mov_b32_e32 v0, v3
	v_mov_b32_e32 v10, v13
	;; [unrolled: 1-line block ×4, first 2 shown]
	v_pk_mul_f32 v[10:11], v[0:1], v[10:11]
	s_waitcnt vmcnt(0)
	v_mov_b32_e32 v0, v9
	v_pk_fma_f32 v[18:19], v[16:17], v[14:15], v[10:11]
	v_pk_fma_f32 v[10:11], v[16:17], v[14:15], v[10:11] neg_lo:[0,0,1] neg_hi:[0,0,1]
	v_pk_fma_f32 v[14:15], v[2:3], v[12:13], v[18:19]
	v_pk_fma_f32 v[16:17], v[2:3], v[12:13], v[18:19] op_sel_hi:[0,1,1] neg_lo:[1,0,0] neg_hi:[1,0,0]
	v_mov_b32_e32 v15, v17
	v_pk_fma_f32 v[2:3], v[2:3], v[12:13], v[10:11] op_sel_hi:[0,1,1] neg_lo:[1,0,0] neg_hi:[1,0,0]
	ds_write_b64 v6, v[14:15]
	ds_write_b64 v7, v[2:3] offset:8736
	ds_read_b64 v[2:3], v5
	ds_read_b64 v[10:11], v7 offset:7280
	v_mov_b32_e32 v12, v1
	v_mov_b32_e32 v13, v9
	s_waitcnt lgkmcnt(0)
	v_pk_add_f32 v[14:15], v[2:3], v[10:11]
	v_pk_add_f32 v[2:3], v[2:3], v[10:11] neg_lo:[0,1] neg_hi:[0,1]
	v_mov_b32_e32 v10, v15
	v_mov_b32_e32 v11, v2
	v_pk_mul_f32 v[10:11], v[10:11], 0.5 op_sel_hi:[1,0]
	s_nop 0
	v_mov_b32_e32 v2, v11
	v_mov_b32_e32 v15, v10
	v_pk_mul_f32 v[2:3], v[0:1], v[2:3]
	s_nop 0
	v_pk_fma_f32 v[16:17], v[14:15], v[12:13], v[2:3]
	v_pk_fma_f32 v[2:3], v[14:15], v[12:13], v[2:3] neg_lo:[0,0,1] neg_hi:[0,0,1]
	v_pk_fma_f32 v[12:13], v[8:9], v[10:11], v[16:17]
	v_pk_fma_f32 v[14:15], v[8:9], v[10:11], v[16:17] op_sel_hi:[0,1,1] neg_lo:[1,0,0] neg_hi:[1,0,0]
	v_mov_b32_e32 v13, v15
	v_pk_fma_f32 v[2:3], v[8:9], v[10:11], v[2:3] op_sel_hi:[0,1,1] neg_lo:[1,0,0] neg_hi:[1,0,0]
	ds_write_b64 v5, v[12:13]
	ds_write_b64 v7, v[2:3] offset:7280
	s_and_saveexec_b64 s[2:3], vcc
	s_cbranch_execz .LBB0_25
; %bb.24:
	v_mov_b32_e32 v31, v29
	v_lshl_add_u64 v[2:3], v[30:31], 3, s[4:5]
	global_load_dwordx2 v[2:3], v[2:3], off
	ds_read_b64 v[8:9], v4
	ds_read_b64 v[10:11], v7 offset:5824
	v_mov_b32_e32 v12, v1
	s_waitcnt lgkmcnt(0)
	v_pk_add_f32 v[14:15], v[8:9], v[10:11]
	v_pk_add_f32 v[8:9], v[8:9], v[10:11] neg_lo:[0,1] neg_hi:[0,1]
	v_mov_b32_e32 v10, v15
	v_mov_b32_e32 v11, v8
	v_pk_mul_f32 v[10:11], v[10:11], 0.5 op_sel_hi:[1,0]
	s_waitcnt vmcnt(0)
	v_mov_b32_e32 v0, v3
	v_mov_b32_e32 v8, v11
	;; [unrolled: 1-line block ×4, first 2 shown]
	v_pk_mul_f32 v[0:1], v[0:1], v[8:9]
	s_nop 0
	v_pk_fma_f32 v[8:9], v[14:15], v[12:13], v[0:1]
	v_pk_fma_f32 v[0:1], v[14:15], v[12:13], v[0:1] neg_lo:[0,0,1] neg_hi:[0,0,1]
	v_pk_fma_f32 v[12:13], v[2:3], v[10:11], v[8:9]
	v_pk_fma_f32 v[8:9], v[2:3], v[10:11], v[8:9] op_sel_hi:[0,1,1] neg_lo:[1,0,0] neg_hi:[1,0,0]
	v_mov_b32_e32 v13, v9
	v_pk_fma_f32 v[0:1], v[2:3], v[10:11], v[0:1] op_sel_hi:[0,1,1] neg_lo:[1,0,0] neg_hi:[1,0,0]
	ds_write_b64 v4, v[12:13]
	ds_write_b64 v7, v[0:1] offset:5824
.LBB0_25:
	s_or_b64 exec, exec, s[2:3]
	s_waitcnt lgkmcnt(0)
	s_barrier
	s_and_saveexec_b64 s[2:3], s[0:1]
	s_cbranch_execz .LBB0_28
; %bb.26:
	ds_read2_b64 v[0:3], v56 offset1:182
	v_add_u32_e32 v4, 0xa00, v56
	ds_read2_b64 v[4:7], v4 offset0:44 offset1:226
	v_mov_b32_e32 v25, 0
	v_lshl_add_u64 v[8:9], v[24:25], 3, v[26:27]
	s_waitcnt lgkmcnt(1)
	global_store_dwordx2 v[8:9], v[0:1], off
	global_store_dwordx2 v[8:9], v[2:3], off offset:1456
	s_waitcnt lgkmcnt(0)
	global_store_dwordx2 v[8:9], v[4:5], off offset:2912
	v_add_u32_e32 v0, 0x1600, v56
	ds_read2_b64 v[0:3], v0 offset0:24 offset1:206
	v_add_co_u32_e32 v4, vcc, 0x1000, v8
	s_movk_i32 s0, 0xb5
	s_nop 0
	v_addc_co_u32_e32 v5, vcc, 0, v9, vcc
	global_store_dwordx2 v[4:5], v[6:7], off offset:272
	s_waitcnt lgkmcnt(0)
	global_store_dwordx2 v[4:5], v[0:1], off offset:1728
	global_store_dwordx2 v[4:5], v[2:3], off offset:3184
	ds_read_b64 v[0:1], v56 offset:8736
	v_add_co_u32_e32 v2, vcc, 0x2000, v8
	s_nop 1
	v_addc_co_u32_e32 v3, vcc, 0, v9, vcc
	v_cmp_eq_u32_e32 vcc, s0, v24
	s_waitcnt lgkmcnt(0)
	global_store_dwordx2 v[2:3], v[0:1], off offset:544
	s_and_b64 exec, exec, vcc
	s_cbranch_execz .LBB0_28
; %bb.27:
	ds_read_b64 v[0:1], v25 offset:10192
	v_add_co_u32_e32 v2, vcc, 0x2000, v26
	s_nop 1
	v_addc_co_u32_e32 v3, vcc, 0, v27, vcc
	s_waitcnt lgkmcnt(0)
	global_store_dwordx2 v[2:3], v[0:1], off offset:2000
.LBB0_28:
	s_endpgm
	.section	.rodata,"a",@progbits
	.p2align	6, 0x0
	.amdhsa_kernel fft_rtc_back_len1274_factors_2_13_7_7_wgs_182_tpt_182_halfLds_sp_ip_CI_unitstride_sbrr_R2C_dirReg
		.amdhsa_group_segment_fixed_size 0
		.amdhsa_private_segment_fixed_size 0
		.amdhsa_kernarg_size 88
		.amdhsa_user_sgpr_count 2
		.amdhsa_user_sgpr_dispatch_ptr 0
		.amdhsa_user_sgpr_queue_ptr 0
		.amdhsa_user_sgpr_kernarg_segment_ptr 1
		.amdhsa_user_sgpr_dispatch_id 0
		.amdhsa_user_sgpr_kernarg_preload_length 0
		.amdhsa_user_sgpr_kernarg_preload_offset 0
		.amdhsa_user_sgpr_private_segment_size 0
		.amdhsa_uses_dynamic_stack 0
		.amdhsa_enable_private_segment 0
		.amdhsa_system_sgpr_workgroup_id_x 1
		.amdhsa_system_sgpr_workgroup_id_y 0
		.amdhsa_system_sgpr_workgroup_id_z 0
		.amdhsa_system_sgpr_workgroup_info 0
		.amdhsa_system_vgpr_workitem_id 0
		.amdhsa_next_free_vgpr 164
		.amdhsa_next_free_sgpr 38
		.amdhsa_accum_offset 164
		.amdhsa_reserve_vcc 1
		.amdhsa_float_round_mode_32 0
		.amdhsa_float_round_mode_16_64 0
		.amdhsa_float_denorm_mode_32 3
		.amdhsa_float_denorm_mode_16_64 3
		.amdhsa_dx10_clamp 1
		.amdhsa_ieee_mode 1
		.amdhsa_fp16_overflow 0
		.amdhsa_tg_split 0
		.amdhsa_exception_fp_ieee_invalid_op 0
		.amdhsa_exception_fp_denorm_src 0
		.amdhsa_exception_fp_ieee_div_zero 0
		.amdhsa_exception_fp_ieee_overflow 0
		.amdhsa_exception_fp_ieee_underflow 0
		.amdhsa_exception_fp_ieee_inexact 0
		.amdhsa_exception_int_div_zero 0
	.end_amdhsa_kernel
	.text
.Lfunc_end0:
	.size	fft_rtc_back_len1274_factors_2_13_7_7_wgs_182_tpt_182_halfLds_sp_ip_CI_unitstride_sbrr_R2C_dirReg, .Lfunc_end0-fft_rtc_back_len1274_factors_2_13_7_7_wgs_182_tpt_182_halfLds_sp_ip_CI_unitstride_sbrr_R2C_dirReg
                                        ; -- End function
	.section	.AMDGPU.csdata,"",@progbits
; Kernel info:
; codeLenInByte = 7476
; NumSgprs: 44
; NumVgprs: 164
; NumAgprs: 0
; TotalNumVgprs: 164
; ScratchSize: 0
; MemoryBound: 0
; FloatMode: 240
; IeeeMode: 1
; LDSByteSize: 0 bytes/workgroup (compile time only)
; SGPRBlocks: 5
; VGPRBlocks: 20
; NumSGPRsForWavesPerEU: 44
; NumVGPRsForWavesPerEU: 164
; AccumOffset: 164
; Occupancy: 3
; WaveLimiterHint : 1
; COMPUTE_PGM_RSRC2:SCRATCH_EN: 0
; COMPUTE_PGM_RSRC2:USER_SGPR: 2
; COMPUTE_PGM_RSRC2:TRAP_HANDLER: 0
; COMPUTE_PGM_RSRC2:TGID_X_EN: 1
; COMPUTE_PGM_RSRC2:TGID_Y_EN: 0
; COMPUTE_PGM_RSRC2:TGID_Z_EN: 0
; COMPUTE_PGM_RSRC2:TIDIG_COMP_CNT: 0
; COMPUTE_PGM_RSRC3_GFX90A:ACCUM_OFFSET: 40
; COMPUTE_PGM_RSRC3_GFX90A:TG_SPLIT: 0
	.text
	.p2alignl 6, 3212836864
	.fill 256, 4, 3212836864
	.type	__hip_cuid_afc468292adf405d,@object ; @__hip_cuid_afc468292adf405d
	.section	.bss,"aw",@nobits
	.globl	__hip_cuid_afc468292adf405d
__hip_cuid_afc468292adf405d:
	.byte	0                               ; 0x0
	.size	__hip_cuid_afc468292adf405d, 1

	.ident	"AMD clang version 19.0.0git (https://github.com/RadeonOpenCompute/llvm-project roc-6.4.0 25133 c7fe45cf4b819c5991fe208aaa96edf142730f1d)"
	.section	".note.GNU-stack","",@progbits
	.addrsig
	.addrsig_sym __hip_cuid_afc468292adf405d
	.amdgpu_metadata
---
amdhsa.kernels:
  - .agpr_count:     0
    .args:
      - .actual_access:  read_only
        .address_space:  global
        .offset:         0
        .size:           8
        .value_kind:     global_buffer
      - .offset:         8
        .size:           8
        .value_kind:     by_value
      - .actual_access:  read_only
        .address_space:  global
        .offset:         16
        .size:           8
        .value_kind:     global_buffer
      - .actual_access:  read_only
        .address_space:  global
        .offset:         24
        .size:           8
        .value_kind:     global_buffer
      - .offset:         32
        .size:           8
        .value_kind:     by_value
      - .actual_access:  read_only
        .address_space:  global
        .offset:         40
        .size:           8
        .value_kind:     global_buffer
      - .actual_access:  read_only
        .address_space:  global
        .offset:         48
        .size:           8
        .value_kind:     global_buffer
      - .offset:         56
        .size:           4
        .value_kind:     by_value
      - .actual_access:  read_only
        .address_space:  global
        .offset:         64
        .size:           8
        .value_kind:     global_buffer
      - .actual_access:  read_only
        .address_space:  global
        .offset:         72
        .size:           8
        .value_kind:     global_buffer
      - .address_space:  global
        .offset:         80
        .size:           8
        .value_kind:     global_buffer
    .group_segment_fixed_size: 0
    .kernarg_segment_align: 8
    .kernarg_segment_size: 88
    .language:       OpenCL C
    .language_version:
      - 2
      - 0
    .max_flat_workgroup_size: 182
    .name:           fft_rtc_back_len1274_factors_2_13_7_7_wgs_182_tpt_182_halfLds_sp_ip_CI_unitstride_sbrr_R2C_dirReg
    .private_segment_fixed_size: 0
    .sgpr_count:     44
    .sgpr_spill_count: 0
    .symbol:         fft_rtc_back_len1274_factors_2_13_7_7_wgs_182_tpt_182_halfLds_sp_ip_CI_unitstride_sbrr_R2C_dirReg.kd
    .uniform_work_group_size: 1
    .uses_dynamic_stack: false
    .vgpr_count:     164
    .vgpr_spill_count: 0
    .wavefront_size: 64
amdhsa.target:   amdgcn-amd-amdhsa--gfx950
amdhsa.version:
  - 1
  - 2
...

	.end_amdgpu_metadata
